;; amdgpu-corpus repo=zjin-lcf/HeCBench kind=compiled arch=gfx90a opt=O3
	.text
	.amdgcn_target "amdgcn-amd-amdhsa--gfx90a"
	.amdhsa_code_object_version 6
	.protected	_Z10chi_kerneljjiiPKhPf ; -- Begin function _Z10chi_kerneljjiiPKhPf
	.globl	_Z10chi_kerneljjiiPKhPf
	.p2align	8
	.type	_Z10chi_kerneljjiiPKhPf,@function
_Z10chi_kerneljjiiPKhPf:                ; @_Z10chi_kerneljjiiPKhPf
; %bb.0:
	s_load_dword s0, s[4:5], 0x2c
	s_load_dwordx4 s[8:11], s[4:5], 0x4
	s_waitcnt lgkmcnt(0)
	s_and_b32 s0, s0, 0xffff
	s_mul_i32 s6, s6, s0
	v_add_u32_e32 v0, s6, v0
	v_cmp_gt_u32_e32 vcc, s8, v0
	s_and_saveexec_b64 s[0:1], vcc
	s_cbranch_execz .LBB0_35
; %bb.1:
	s_load_dwordx4 s[0:3], s[4:5], 0x10
	s_cmp_lt_i32 s9, 1
	v_mov_b32_e32 v4, 1
	v_ashrrev_i32_e32 v1, 31, v0
	v_mov_b32_e32 v5, 1
	v_mov_b32_e32 v6, 1
	s_cbranch_scc1 .LBB0_16
; %bb.2:
	s_mov_b32 s4, 0
	s_waitcnt lgkmcnt(0)
	v_mov_b32_e32 v3, s1
	v_add_co_u32_e32 v2, vcc, s0, v0
	s_mov_b32 s11, s8
	v_addc_co_u32_e32 v3, vcc, v3, v1, vcc
	v_mov_b32_e32 v6, 1
	v_mov_b32_e32 v7, s4
	s_mov_b32 s14, s9
	v_mov_b32_e32 v5, 1
	v_mov_b32_e32 v4, 1
	s_branch .LBB0_5
.LBB0_3:                                ;   in Loop: Header=BB0_5 Depth=1
	s_or_b64 exec, exec, s[6:7]
.LBB0_4:                                ;   in Loop: Header=BB0_5 Depth=1
	s_or_b64 exec, exec, s[4:5]
	s_add_i32 s14, s14, -1
	v_add_co_u32_e32 v2, vcc, s11, v2
	s_cmp_eq_u32 s14, 0
	v_addc_co_u32_e32 v3, vcc, v3, v7, vcc
	s_cbranch_scc1 .LBB0_16
.LBB0_5:                                ; =>This Inner Loop Header: Depth=1
	global_load_ubyte v8, v[2:3], off
	s_waitcnt vmcnt(0)
	v_cmp_lt_i16_e32 vcc, 48, v8
	s_and_saveexec_b64 s[4:5], vcc
	s_xor_b64 s[4:5], exec, s[4:5]
	s_cbranch_execz .LBB0_13
; %bb.6:                                ;   in Loop: Header=BB0_5 Depth=1
	v_cmp_lt_i16_e32 vcc, 49, v8
	s_and_saveexec_b64 s[6:7], vcc
	s_xor_b64 s[6:7], exec, s[6:7]
	s_cbranch_execz .LBB0_10
; %bb.7:                                ;   in Loop: Header=BB0_5 Depth=1
	v_cmp_eq_u16_e32 vcc, 50, v8
	s_and_saveexec_b64 s[12:13], vcc
; %bb.8:                                ;   in Loop: Header=BB0_5 Depth=1
	v_add_u32_e32 v4, 1, v4
; %bb.9:                                ;   in Loop: Header=BB0_5 Depth=1
	s_or_b64 exec, exec, s[12:13]
.LBB0_10:                               ;   in Loop: Header=BB0_5 Depth=1
	s_andn2_saveexec_b64 s[6:7], s[6:7]
; %bb.11:                               ;   in Loop: Header=BB0_5 Depth=1
	v_add_u32_e32 v5, 1, v5
; %bb.12:                               ;   in Loop: Header=BB0_5 Depth=1
	s_or_b64 exec, exec, s[6:7]
                                        ; implicit-def: $vgpr8
.LBB0_13:                               ;   in Loop: Header=BB0_5 Depth=1
	s_andn2_saveexec_b64 s[4:5], s[4:5]
	s_cbranch_execz .LBB0_4
; %bb.14:                               ;   in Loop: Header=BB0_5 Depth=1
	v_cmp_eq_u16_e32 vcc, 48, v8
	s_and_saveexec_b64 s[6:7], vcc
	s_cbranch_execz .LBB0_3
; %bb.15:                               ;   in Loop: Header=BB0_5 Depth=1
	v_add_u32_e32 v6, 1, v6
	s_branch .LBB0_3
.LBB0_16:
	s_cmp_gt_i32 s10, 0
	s_cbranch_scc1 .LBB0_18
; %bb.17:
	s_mov_b64 s[4:5], 0
	s_mov_b32 s6, 1
	s_branch .LBB0_19
.LBB0_18:
	s_mov_b64 s[4:5], -1
                                        ; implicit-def: $sgpr6
.LBB0_19:
	s_andn2_b64 vcc, exec, s[4:5]
	v_mov_b32_e32 v8, s6
	v_mov_b32_e32 v7, s6
	;; [unrolled: 1-line block ×3, first 2 shown]
	s_cbranch_vccnz .LBB0_34
; %bb.20:
	s_ashr_i32 s5, s9, 31
	s_mul_hi_u32 s6, s9, s8
	s_mul_i32 s5, s5, s8
	s_add_i32 s10, s10, s9
	s_add_i32 s6, s6, s5
	s_mul_i32 s5, s9, s8
	s_waitcnt lgkmcnt(0)
	s_add_u32 s0, s0, s5
	s_addc_u32 s1, s1, s6
	s_mov_b32 s4, 0
	v_mov_b32_e32 v3, s1
	v_add_co_u32_e32 v2, vcc, s0, v0
	s_mov_b32 s11, s8
	v_addc_co_u32_e32 v3, vcc, v3, v1, vcc
	v_mov_b32_e32 v9, 1
	v_mov_b32_e32 v10, s4
	;; [unrolled: 1-line block ×4, first 2 shown]
	s_branch .LBB0_23
.LBB0_21:                               ;   in Loop: Header=BB0_23 Depth=1
	s_or_b64 exec, exec, s[4:5]
.LBB0_22:                               ;   in Loop: Header=BB0_23 Depth=1
	s_or_b64 exec, exec, s[0:1]
	s_add_i32 s9, s9, 1
	v_add_co_u32_e32 v2, vcc, s11, v2
	s_cmp_ge_i32 s9, s10
	v_addc_co_u32_e32 v3, vcc, v3, v10, vcc
	s_cbranch_scc1 .LBB0_34
.LBB0_23:                               ; =>This Inner Loop Header: Depth=1
	global_load_ubyte v11, v[2:3], off
	s_waitcnt vmcnt(0)
	v_cmp_lt_i16_e32 vcc, 48, v11
	s_and_saveexec_b64 s[0:1], vcc
	s_xor_b64 s[0:1], exec, s[0:1]
	s_cbranch_execz .LBB0_31
; %bb.24:                               ;   in Loop: Header=BB0_23 Depth=1
	v_cmp_lt_i16_e32 vcc, 49, v11
	s_and_saveexec_b64 s[4:5], vcc
	s_xor_b64 s[4:5], exec, s[4:5]
	s_cbranch_execz .LBB0_28
; %bb.25:                               ;   in Loop: Header=BB0_23 Depth=1
	v_cmp_eq_u16_e32 vcc, 50, v11
	s_and_saveexec_b64 s[6:7], vcc
; %bb.26:                               ;   in Loop: Header=BB0_23 Depth=1
	v_add_u32_e32 v8, 1, v8
; %bb.27:                               ;   in Loop: Header=BB0_23 Depth=1
	s_or_b64 exec, exec, s[6:7]
.LBB0_28:                               ;   in Loop: Header=BB0_23 Depth=1
	s_andn2_saveexec_b64 s[4:5], s[4:5]
; %bb.29:                               ;   in Loop: Header=BB0_23 Depth=1
	v_add_u32_e32 v7, 1, v7
; %bb.30:                               ;   in Loop: Header=BB0_23 Depth=1
	s_or_b64 exec, exec, s[4:5]
                                        ; implicit-def: $vgpr11
.LBB0_31:                               ;   in Loop: Header=BB0_23 Depth=1
	s_andn2_saveexec_b64 s[0:1], s[0:1]
	s_cbranch_execz .LBB0_22
; %bb.32:                               ;   in Loop: Header=BB0_23 Depth=1
	v_cmp_eq_u16_e32 vcc, 48, v11
	s_and_saveexec_b64 s[4:5], vcc
	s_cbranch_execz .LBB0_21
; %bb.33:                               ;   in Loop: Header=BB0_23 Depth=1
	v_add_u32_e32 v9, 1, v9
	s_branch .LBB0_21
.LBB0_34:
	v_cvt_f32_i32_e32 v3, v9
	v_add_u32_e32 v9, v9, v7
	v_add_u32_e32 v10, v6, v5
	v_cvt_f32_i32_e32 v2, v6
	v_add3_u32 v12, v10, v4, 1
	v_add3_u32 v9, v9, v8, 1
	v_cvt_f32_i32_e32 v11, v9
	v_cvt_f32_i32_e32 v10, v12
	v_add_u32_e32 v9, v9, v12
	v_cvt_f32_i32_e32 v16, v9
	v_mov_b32_e32 v6, v3
	v_pk_add_f32 v[12:13], v[6:7], v[2:3] op_sel_hi:[0,1]
	v_pk_mul_f32 v[12:13], v[12:13], v[10:11] op_sel_hi:[0,1]
	s_waitcnt lgkmcnt(0)
	v_div_scale_f32 v6, s[0:1], v16, v16, v13
	v_rcp_f32_e32 v9, v6
	v_lshlrev_b64 v[0:1], 2, v[0:1]
	v_fma_f32 v14, -v6, v9, 1.0
	v_fmac_f32_e32 v9, v14, v9
	v_div_scale_f32 v14, vcc, v13, v16, v13
	v_mul_f32_e32 v15, v14, v9
	v_fma_f32 v17, -v6, v15, v14
	v_fmac_f32_e32 v15, v17, v9
	v_fma_f32 v6, -v6, v15, v14
	v_div_scale_f32 v14, s[0:1], v16, v16, v12
	v_rcp_f32_e32 v17, v14
	v_div_fmas_f32 v6, v6, v9, v15
	v_div_fixup_f32 v13, v6, v16, v13
	v_fma_f32 v6, -v14, v17, 1.0
	v_fmac_f32_e32 v17, v6, v17
	v_div_scale_f32 v6, vcc, v12, v16, v12
	v_mul_f32_e32 v9, v6, v17
	v_fma_f32 v15, -v14, v9, v6
	v_fmac_f32_e32 v9, v15, v17
	v_fma_f32 v6, -v14, v9, v6
	v_div_fmas_f32 v6, v6, v17, v9
	v_div_fixup_f32 v12, v6, v16, v12
	v_pk_add_f32 v[2:3], v[2:3], v[12:13] neg_lo:[0,1] neg_hi:[0,1]
	v_pk_mul_f32 v[2:3], v[2:3], v[2:3]
	v_div_scale_f32 v6, s[0:1], v13, v13, v3
	v_rcp_f32_e32 v9, v6
	v_fma_f32 v14, -v6, v9, 1.0
	v_fmac_f32_e32 v9, v14, v9
	v_div_scale_f32 v14, vcc, v3, v13, v3
	v_mul_f32_e32 v15, v14, v9
	v_fma_f32 v17, -v6, v15, v14
	v_fmac_f32_e32 v15, v17, v9
	v_div_scale_f32 v17, s[0:1], v12, v12, v2
	v_rcp_f32_e32 v18, v17
	v_fma_f32 v6, -v6, v15, v14
	v_div_fmas_f32 v6, v6, v9, v15
	v_div_fixup_f32 v3, v6, v13, v3
	v_fma_f32 v6, -v17, v18, 1.0
	v_fmac_f32_e32 v18, v6, v18
	v_div_scale_f32 v6, vcc, v2, v12, v2
	v_mul_f32_e32 v9, v6, v18
	v_cvt_f32_i32_e32 v15, v4
	v_cvt_f32_i32_e32 v14, v5
	;; [unrolled: 1-line block ×4, first 2 shown]
	v_fma_f32 v13, -v17, v9, v6
	v_fmac_f32_e32 v9, v13, v18
	v_fma_f32 v6, -v17, v9, v6
	v_div_fmas_f32 v13, v6, v18, v9
	v_pk_add_f32 v[6:7], v[14:15], v[4:5]
	v_pk_mul_f32 v[8:9], v[6:7], v[10:11] op_sel_hi:[1,0]
	v_div_scale_f32 v10, s[0:1], v16, v16, v9
	v_rcp_f32_e32 v17, v10
	v_div_fixup_f32 v2, v13, v12, v2
	v_add_f32_e32 v2, v2, v3
	v_add_f32_e32 v12, 0, v2
	v_fma_f32 v2, -v10, v17, 1.0
	v_fmac_f32_e32 v17, v2, v17
	v_div_scale_f32 v2, vcc, v9, v16, v9
	v_mul_f32_e32 v3, v2, v17
	v_fma_f32 v13, -v10, v3, v2
	v_fmac_f32_e32 v3, v13, v17
	v_fma_f32 v2, -v10, v3, v2
	v_div_scale_f32 v10, s[0:1], v16, v16, v8
	v_rcp_f32_e32 v13, v10
	v_div_fmas_f32 v2, v2, v17, v3
	v_div_fixup_f32 v3, v2, v16, v9
	v_fma_f32 v2, -v10, v13, 1.0
	v_fmac_f32_e32 v13, v2, v13
	v_div_scale_f32 v2, vcc, v8, v16, v8
	v_mul_f32_e32 v9, v2, v13
	v_fma_f32 v17, -v10, v9, v2
	v_fmac_f32_e32 v9, v17, v13
	v_fma_f32 v10, -v10, v9, v2
	v_mov_b32_e32 v2, v11
	v_pk_mul_f32 v[6:7], v[6:7], v[2:3] op_sel_hi:[1,0]
	v_div_scale_f32 v11, s[0:1], v16, v16, v7
	v_rcp_f32_e32 v17, v11
	v_div_fmas_f32 v2, v10, v13, v9
	v_div_fixup_f32 v2, v2, v16, v8
	v_fma_f32 v8, -v11, v17, 1.0
	v_fmac_f32_e32 v17, v8, v17
	v_div_scale_f32 v8, vcc, v7, v16, v7
	v_mul_f32_e32 v9, v8, v17
	v_fma_f32 v10, -v11, v9, v8
	v_fmac_f32_e32 v9, v10, v17
	v_div_scale_f32 v10, s[0:1], v16, v16, v6
	v_fma_f32 v8, -v11, v9, v8
	v_rcp_f32_e32 v11, v10
	v_div_fmas_f32 v8, v8, v17, v9
	v_div_fixup_f32 v7, v8, v16, v7
	v_fma_f32 v8, -v10, v11, 1.0
	v_fmac_f32_e32 v11, v8, v11
	v_div_scale_f32 v8, vcc, v6, v16, v6
	v_mul_f32_e32 v13, v8, v11
	v_fma_f32 v9, -v10, v13, v8
	v_fmac_f32_e32 v13, v9, v11
	v_fma_f32 v10, -v10, v13, v8
	v_pk_add_f32 v[8:9], v[14:15], v[2:3] neg_lo:[0,1] neg_hi:[0,1]
	v_pk_mul_f32 v[8:9], v[8:9], v[8:9]
	v_div_scale_f32 v14, s[0:1], v3, v3, v9
	v_rcp_f32_e32 v15, v14
	v_div_fmas_f32 v10, v10, v11, v13
	v_div_fixup_f32 v6, v10, v16, v6
	v_pk_add_f32 v[4:5], v[4:5], v[6:7] neg_lo:[0,1] neg_hi:[0,1]
	v_fma_f32 v10, -v14, v15, 1.0
	v_fmac_f32_e32 v15, v10, v15
	v_div_scale_f32 v10, vcc, v9, v3, v9
	v_mul_f32_e32 v11, v10, v15
	v_fma_f32 v13, -v14, v11, v10
	v_fmac_f32_e32 v11, v13, v15
	v_div_scale_f32 v13, s[0:1], v2, v2, v8
	v_fma_f32 v10, -v14, v11, v10
	v_rcp_f32_e32 v14, v13
	v_div_fmas_f32 v10, v10, v15, v11
	v_div_fixup_f32 v3, v10, v3, v9
	v_pk_mul_f32 v[4:5], v[4:5], v[4:5]
	v_fma_f32 v9, -v13, v14, 1.0
	v_fmac_f32_e32 v14, v9, v14
	v_div_scale_f32 v9, vcc, v8, v2, v8
	v_mul_f32_e32 v10, v9, v14
	v_fma_f32 v11, -v13, v10, v9
	v_fmac_f32_e32 v10, v11, v14
	v_div_scale_f32 v11, s[0:1], v7, v7, v5
	v_fma_f32 v9, -v13, v10, v9
	v_rcp_f32_e32 v13, v11
	v_div_fmas_f32 v9, v9, v14, v10
	v_div_fixup_f32 v2, v9, v2, v8
	v_fma_f32 v8, -v11, v13, 1.0
	v_fmac_f32_e32 v13, v8, v13
	v_div_scale_f32 v8, vcc, v5, v7, v5
	v_mul_f32_e32 v9, v8, v13
	v_fma_f32 v10, -v11, v9, v8
	v_fmac_f32_e32 v9, v10, v13
	v_div_scale_f32 v10, s[0:1], v6, v6, v4
	v_fma_f32 v8, -v11, v9, v8
	v_rcp_f32_e32 v11, v10
	v_div_fmas_f32 v8, v8, v13, v9
	v_div_fixup_f32 v5, v8, v7, v5
	v_fma_f32 v7, -v10, v11, 1.0
	v_fmac_f32_e32 v11, v7, v11
	v_div_scale_f32 v7, vcc, v4, v6, v4
	v_mul_f32_e32 v8, v7, v11
	v_fma_f32 v9, -v10, v8, v7
	v_fmac_f32_e32 v8, v9, v11
	v_fma_f32 v7, -v10, v8, v7
	v_div_fmas_f32 v7, v7, v11, v8
	v_div_fixup_f32 v4, v7, v6, v4
	v_pk_add_f32 v[2:3], v[2:3], v[4:5]
	v_add_f32_e32 v2, v12, v2
	v_add_f32_e32 v2, v2, v3
	v_mov_b32_e32 v3, s3
	v_add_co_u32_e32 v0, vcc, s2, v0
	v_addc_co_u32_e32 v1, vcc, v3, v1, vcc
	global_store_dword v[0:1], v2, off
.LBB0_35:
	s_endpgm
	.section	.rodata,"a",@progbits
	.p2align	6, 0x0
	.amdhsa_kernel _Z10chi_kerneljjiiPKhPf
		.amdhsa_group_segment_fixed_size 0
		.amdhsa_private_segment_fixed_size 0
		.amdhsa_kernarg_size 288
		.amdhsa_user_sgpr_count 6
		.amdhsa_user_sgpr_private_segment_buffer 1
		.amdhsa_user_sgpr_dispatch_ptr 0
		.amdhsa_user_sgpr_queue_ptr 0
		.amdhsa_user_sgpr_kernarg_segment_ptr 1
		.amdhsa_user_sgpr_dispatch_id 0
		.amdhsa_user_sgpr_flat_scratch_init 0
		.amdhsa_user_sgpr_kernarg_preload_length 0
		.amdhsa_user_sgpr_kernarg_preload_offset 0
		.amdhsa_user_sgpr_private_segment_size 0
		.amdhsa_uses_dynamic_stack 0
		.amdhsa_system_sgpr_private_segment_wavefront_offset 0
		.amdhsa_system_sgpr_workgroup_id_x 1
		.amdhsa_system_sgpr_workgroup_id_y 0
		.amdhsa_system_sgpr_workgroup_id_z 0
		.amdhsa_system_sgpr_workgroup_info 0
		.amdhsa_system_vgpr_workitem_id 0
		.amdhsa_next_free_vgpr 19
		.amdhsa_next_free_sgpr 15
		.amdhsa_accum_offset 20
		.amdhsa_reserve_vcc 1
		.amdhsa_reserve_flat_scratch 0
		.amdhsa_float_round_mode_32 0
		.amdhsa_float_round_mode_16_64 0
		.amdhsa_float_denorm_mode_32 3
		.amdhsa_float_denorm_mode_16_64 3
		.amdhsa_dx10_clamp 1
		.amdhsa_ieee_mode 1
		.amdhsa_fp16_overflow 0
		.amdhsa_tg_split 0
		.amdhsa_exception_fp_ieee_invalid_op 0
		.amdhsa_exception_fp_denorm_src 0
		.amdhsa_exception_fp_ieee_div_zero 0
		.amdhsa_exception_fp_ieee_overflow 0
		.amdhsa_exception_fp_ieee_underflow 0
		.amdhsa_exception_fp_ieee_inexact 0
		.amdhsa_exception_int_div_zero 0
	.end_amdhsa_kernel
	.text
.Lfunc_end0:
	.size	_Z10chi_kerneljjiiPKhPf, .Lfunc_end0-_Z10chi_kerneljjiiPKhPf
                                        ; -- End function
	.section	.AMDGPU.csdata,"",@progbits
; Kernel info:
; codeLenInByte = 1588
; NumSgprs: 19
; NumVgprs: 19
; NumAgprs: 0
; TotalNumVgprs: 19
; ScratchSize: 0
; MemoryBound: 0
; FloatMode: 240
; IeeeMode: 1
; LDSByteSize: 0 bytes/workgroup (compile time only)
; SGPRBlocks: 2
; VGPRBlocks: 2
; NumSGPRsForWavesPerEU: 19
; NumVGPRsForWavesPerEU: 19
; AccumOffset: 20
; Occupancy: 8
; WaveLimiterHint : 0
; COMPUTE_PGM_RSRC2:SCRATCH_EN: 0
; COMPUTE_PGM_RSRC2:USER_SGPR: 6
; COMPUTE_PGM_RSRC2:TRAP_HANDLER: 0
; COMPUTE_PGM_RSRC2:TGID_X_EN: 1
; COMPUTE_PGM_RSRC2:TGID_Y_EN: 0
; COMPUTE_PGM_RSRC2:TGID_Z_EN: 0
; COMPUTE_PGM_RSRC2:TIDIG_COMP_CNT: 0
; COMPUTE_PGM_RSRC3_GFX90A:ACCUM_OFFSET: 4
; COMPUTE_PGM_RSRC3_GFX90A:TG_SPLIT: 0
	.text
	.p2alignl 6, 3212836864
	.fill 256, 4, 3212836864
	.type	__hip_cuid_e91b177171a06d09,@object ; @__hip_cuid_e91b177171a06d09
	.section	.bss,"aw",@nobits
	.globl	__hip_cuid_e91b177171a06d09
__hip_cuid_e91b177171a06d09:
	.byte	0                               ; 0x0
	.size	__hip_cuid_e91b177171a06d09, 1

	.ident	"AMD clang version 19.0.0git (https://github.com/RadeonOpenCompute/llvm-project roc-6.4.0 25133 c7fe45cf4b819c5991fe208aaa96edf142730f1d)"
	.section	".note.GNU-stack","",@progbits
	.addrsig
	.addrsig_sym __hip_cuid_e91b177171a06d09
	.amdgpu_metadata
---
amdhsa.kernels:
  - .agpr_count:     0
    .args:
      - .offset:         0
        .size:           4
        .value_kind:     by_value
      - .offset:         4
        .size:           4
        .value_kind:     by_value
      - .offset:         8
        .size:           4
        .value_kind:     by_value
      - .offset:         12
        .size:           4
        .value_kind:     by_value
      - .actual_access:  read_only
        .address_space:  global
        .offset:         16
        .size:           8
        .value_kind:     global_buffer
      - .actual_access:  write_only
        .address_space:  global
        .offset:         24
        .size:           8
        .value_kind:     global_buffer
      - .offset:         32
        .size:           4
        .value_kind:     hidden_block_count_x
      - .offset:         36
        .size:           4
        .value_kind:     hidden_block_count_y
      - .offset:         40
        .size:           4
        .value_kind:     hidden_block_count_z
      - .offset:         44
        .size:           2
        .value_kind:     hidden_group_size_x
      - .offset:         46
        .size:           2
        .value_kind:     hidden_group_size_y
      - .offset:         48
        .size:           2
        .value_kind:     hidden_group_size_z
      - .offset:         50
        .size:           2
        .value_kind:     hidden_remainder_x
      - .offset:         52
        .size:           2
        .value_kind:     hidden_remainder_y
      - .offset:         54
        .size:           2
        .value_kind:     hidden_remainder_z
      - .offset:         72
        .size:           8
        .value_kind:     hidden_global_offset_x
      - .offset:         80
        .size:           8
        .value_kind:     hidden_global_offset_y
      - .offset:         88
        .size:           8
        .value_kind:     hidden_global_offset_z
      - .offset:         96
        .size:           2
        .value_kind:     hidden_grid_dims
    .group_segment_fixed_size: 0
    .kernarg_segment_align: 8
    .kernarg_segment_size: 288
    .language:       OpenCL C
    .language_version:
      - 2
      - 0
    .max_flat_workgroup_size: 1024
    .name:           _Z10chi_kerneljjiiPKhPf
    .private_segment_fixed_size: 0
    .sgpr_count:     19
    .sgpr_spill_count: 0
    .symbol:         _Z10chi_kerneljjiiPKhPf.kd
    .uniform_work_group_size: 1
    .uses_dynamic_stack: false
    .vgpr_count:     19
    .vgpr_spill_count: 0
    .wavefront_size: 64
amdhsa.target:   amdgcn-amd-amdhsa--gfx90a
amdhsa.version:
  - 1
  - 2
...

	.end_amdgpu_metadata
